;; amdgpu-corpus repo=ROCm/rocFFT kind=compiled arch=gfx1030 opt=O3
	.text
	.amdgcn_target "amdgcn-amd-amdhsa--gfx1030"
	.amdhsa_code_object_version 6
	.protected	fft_rtc_fwd_len364_factors_13_7_4_wgs_52_tpt_52_dp_op_CI_CI_sbrr_dirReg ; -- Begin function fft_rtc_fwd_len364_factors_13_7_4_wgs_52_tpt_52_dp_op_CI_CI_sbrr_dirReg
	.globl	fft_rtc_fwd_len364_factors_13_7_4_wgs_52_tpt_52_dp_op_CI_CI_sbrr_dirReg
	.p2align	8
	.type	fft_rtc_fwd_len364_factors_13_7_4_wgs_52_tpt_52_dp_op_CI_CI_sbrr_dirReg,@function
fft_rtc_fwd_len364_factors_13_7_4_wgs_52_tpt_52_dp_op_CI_CI_sbrr_dirReg: ; @fft_rtc_fwd_len364_factors_13_7_4_wgs_52_tpt_52_dp_op_CI_CI_sbrr_dirReg
; %bb.0:
	s_clause 0x2
	s_load_dwordx4 s[16:19], s[4:5], 0x18
	s_load_dwordx4 s[12:15], s[4:5], 0x0
	;; [unrolled: 1-line block ×3, first 2 shown]
	v_mul_u32_u24_e32 v1, 0x4ed, v0
	v_mov_b32_e32 v3, 0
	s_waitcnt lgkmcnt(0)
	s_load_dwordx2 s[20:21], s[16:17], 0x0
	s_load_dwordx2 s[2:3], s[18:19], 0x0
	v_cmp_lt_u64_e64 s0, s[14:15], 2
	v_add_nc_u32_sdwa v5, s6, v1 dst_sel:DWORD dst_unused:UNUSED_PAD src0_sel:DWORD src1_sel:WORD_1
	v_mov_b32_e32 v1, 0
	v_mov_b32_e32 v6, v3
	;; [unrolled: 1-line block ×3, first 2 shown]
	s_and_b32 vcc_lo, exec_lo, s0
	s_cbranch_vccnz .LBB0_8
; %bb.1:
	s_load_dwordx2 s[0:1], s[4:5], 0x10
	v_mov_b32_e32 v1, 0
	v_mov_b32_e32 v2, 0
	s_add_u32 s6, s18, 8
	s_addc_u32 s7, s19, 0
	s_add_u32 s22, s16, 8
	s_addc_u32 s23, s17, 0
	v_mov_b32_e32 v57, v2
	v_mov_b32_e32 v56, v1
	s_mov_b64 s[26:27], 1
	s_waitcnt lgkmcnt(0)
	s_add_u32 s24, s0, 8
	s_addc_u32 s25, s1, 0
.LBB0_2:                                ; =>This Inner Loop Header: Depth=1
	s_load_dwordx2 s[28:29], s[24:25], 0x0
                                        ; implicit-def: $vgpr58_vgpr59
	s_mov_b32 s0, exec_lo
	s_waitcnt lgkmcnt(0)
	v_or_b32_e32 v4, s29, v6
	v_cmpx_ne_u64_e32 0, v[3:4]
	s_xor_b32 s1, exec_lo, s0
	s_cbranch_execz .LBB0_4
; %bb.3:                                ;   in Loop: Header=BB0_2 Depth=1
	v_cvt_f32_u32_e32 v4, s28
	v_cvt_f32_u32_e32 v7, s29
	s_sub_u32 s0, 0, s28
	s_subb_u32 s30, 0, s29
	v_fmac_f32_e32 v4, 0x4f800000, v7
	v_rcp_f32_e32 v4, v4
	v_mul_f32_e32 v4, 0x5f7ffffc, v4
	v_mul_f32_e32 v7, 0x2f800000, v4
	v_trunc_f32_e32 v7, v7
	v_fmac_f32_e32 v4, 0xcf800000, v7
	v_cvt_u32_f32_e32 v7, v7
	v_cvt_u32_f32_e32 v4, v4
	v_mul_lo_u32 v8, s0, v7
	v_mul_hi_u32 v9, s0, v4
	v_mul_lo_u32 v10, s30, v4
	v_add_nc_u32_e32 v8, v9, v8
	v_mul_lo_u32 v9, s0, v4
	v_add_nc_u32_e32 v8, v8, v10
	v_mul_hi_u32 v10, v4, v9
	v_mul_lo_u32 v11, v4, v8
	v_mul_hi_u32 v12, v4, v8
	v_mul_hi_u32 v13, v7, v9
	v_mul_lo_u32 v9, v7, v9
	v_mul_hi_u32 v14, v7, v8
	v_mul_lo_u32 v8, v7, v8
	v_add_co_u32 v10, vcc_lo, v10, v11
	v_add_co_ci_u32_e32 v11, vcc_lo, 0, v12, vcc_lo
	v_add_co_u32 v9, vcc_lo, v10, v9
	v_add_co_ci_u32_e32 v9, vcc_lo, v11, v13, vcc_lo
	v_add_co_ci_u32_e32 v10, vcc_lo, 0, v14, vcc_lo
	v_add_co_u32 v8, vcc_lo, v9, v8
	v_add_co_ci_u32_e32 v9, vcc_lo, 0, v10, vcc_lo
	v_add_co_u32 v4, vcc_lo, v4, v8
	v_add_co_ci_u32_e32 v7, vcc_lo, v7, v9, vcc_lo
	v_mul_hi_u32 v8, s0, v4
	v_mul_lo_u32 v10, s30, v4
	v_mul_lo_u32 v9, s0, v7
	v_add_nc_u32_e32 v8, v8, v9
	v_mul_lo_u32 v9, s0, v4
	v_add_nc_u32_e32 v8, v8, v10
	v_mul_hi_u32 v10, v4, v9
	v_mul_lo_u32 v11, v4, v8
	v_mul_hi_u32 v12, v4, v8
	v_mul_hi_u32 v13, v7, v9
	v_mul_lo_u32 v9, v7, v9
	v_mul_hi_u32 v14, v7, v8
	v_mul_lo_u32 v8, v7, v8
	v_add_co_u32 v10, vcc_lo, v10, v11
	v_add_co_ci_u32_e32 v11, vcc_lo, 0, v12, vcc_lo
	v_add_co_u32 v9, vcc_lo, v10, v9
	v_add_co_ci_u32_e32 v9, vcc_lo, v11, v13, vcc_lo
	v_add_co_ci_u32_e32 v10, vcc_lo, 0, v14, vcc_lo
	v_add_co_u32 v8, vcc_lo, v9, v8
	v_add_co_ci_u32_e32 v9, vcc_lo, 0, v10, vcc_lo
	v_add_co_u32 v4, vcc_lo, v4, v8
	v_add_co_ci_u32_e32 v11, vcc_lo, v7, v9, vcc_lo
	v_mul_hi_u32 v13, v5, v4
	v_mad_u64_u32 v[9:10], null, v6, v4, 0
	v_mad_u64_u32 v[7:8], null, v5, v11, 0
	v_mad_u64_u32 v[11:12], null, v6, v11, 0
	v_add_co_u32 v4, vcc_lo, v13, v7
	v_add_co_ci_u32_e32 v7, vcc_lo, 0, v8, vcc_lo
	v_add_co_u32 v4, vcc_lo, v4, v9
	v_add_co_ci_u32_e32 v4, vcc_lo, v7, v10, vcc_lo
	v_add_co_ci_u32_e32 v7, vcc_lo, 0, v12, vcc_lo
	v_add_co_u32 v4, vcc_lo, v4, v11
	v_add_co_ci_u32_e32 v9, vcc_lo, 0, v7, vcc_lo
	v_mul_lo_u32 v10, s29, v4
	v_mad_u64_u32 v[7:8], null, s28, v4, 0
	v_mul_lo_u32 v11, s28, v9
	v_sub_co_u32 v7, vcc_lo, v5, v7
	v_add3_u32 v8, v8, v11, v10
	v_sub_nc_u32_e32 v10, v6, v8
	v_subrev_co_ci_u32_e64 v10, s0, s29, v10, vcc_lo
	v_add_co_u32 v11, s0, v4, 2
	v_add_co_ci_u32_e64 v12, s0, 0, v9, s0
	v_sub_co_u32 v13, s0, v7, s28
	v_sub_co_ci_u32_e32 v8, vcc_lo, v6, v8, vcc_lo
	v_subrev_co_ci_u32_e64 v10, s0, 0, v10, s0
	v_cmp_le_u32_e32 vcc_lo, s28, v13
	v_cmp_eq_u32_e64 s0, s29, v8
	v_cndmask_b32_e64 v13, 0, -1, vcc_lo
	v_cmp_le_u32_e32 vcc_lo, s29, v10
	v_cndmask_b32_e64 v14, 0, -1, vcc_lo
	v_cmp_le_u32_e32 vcc_lo, s28, v7
	;; [unrolled: 2-line block ×3, first 2 shown]
	v_cndmask_b32_e64 v15, 0, -1, vcc_lo
	v_cmp_eq_u32_e32 vcc_lo, s29, v10
	v_cndmask_b32_e64 v7, v15, v7, s0
	v_cndmask_b32_e32 v10, v14, v13, vcc_lo
	v_add_co_u32 v13, vcc_lo, v4, 1
	v_add_co_ci_u32_e32 v14, vcc_lo, 0, v9, vcc_lo
	v_cmp_ne_u32_e32 vcc_lo, 0, v10
	v_cndmask_b32_e32 v8, v14, v12, vcc_lo
	v_cndmask_b32_e32 v10, v13, v11, vcc_lo
	v_cmp_ne_u32_e32 vcc_lo, 0, v7
	v_cndmask_b32_e32 v59, v9, v8, vcc_lo
	v_cndmask_b32_e32 v58, v4, v10, vcc_lo
.LBB0_4:                                ;   in Loop: Header=BB0_2 Depth=1
	s_andn2_saveexec_b32 s0, s1
	s_cbranch_execz .LBB0_6
; %bb.5:                                ;   in Loop: Header=BB0_2 Depth=1
	v_cvt_f32_u32_e32 v4, s28
	s_sub_i32 s1, 0, s28
	v_mov_b32_e32 v59, v3
	v_rcp_iflag_f32_e32 v4, v4
	v_mul_f32_e32 v4, 0x4f7ffffe, v4
	v_cvt_u32_f32_e32 v4, v4
	v_mul_lo_u32 v7, s1, v4
	v_mul_hi_u32 v7, v4, v7
	v_add_nc_u32_e32 v4, v4, v7
	v_mul_hi_u32 v4, v5, v4
	v_mul_lo_u32 v7, v4, s28
	v_add_nc_u32_e32 v8, 1, v4
	v_sub_nc_u32_e32 v7, v5, v7
	v_subrev_nc_u32_e32 v9, s28, v7
	v_cmp_le_u32_e32 vcc_lo, s28, v7
	v_cndmask_b32_e32 v7, v7, v9, vcc_lo
	v_cndmask_b32_e32 v4, v4, v8, vcc_lo
	v_cmp_le_u32_e32 vcc_lo, s28, v7
	v_add_nc_u32_e32 v8, 1, v4
	v_cndmask_b32_e32 v58, v4, v8, vcc_lo
.LBB0_6:                                ;   in Loop: Header=BB0_2 Depth=1
	s_or_b32 exec_lo, exec_lo, s0
	v_mul_lo_u32 v4, v59, s28
	v_mul_lo_u32 v9, v58, s29
	s_load_dwordx2 s[0:1], s[22:23], 0x0
	v_mad_u64_u32 v[7:8], null, v58, s28, 0
	s_load_dwordx2 s[28:29], s[6:7], 0x0
	s_add_u32 s26, s26, 1
	s_addc_u32 s27, s27, 0
	s_add_u32 s6, s6, 8
	s_addc_u32 s7, s7, 0
	s_add_u32 s22, s22, 8
	v_add3_u32 v4, v8, v9, v4
	v_sub_co_u32 v5, vcc_lo, v5, v7
	s_addc_u32 s23, s23, 0
	s_add_u32 s24, s24, 8
	v_sub_co_ci_u32_e32 v4, vcc_lo, v6, v4, vcc_lo
	s_addc_u32 s25, s25, 0
	s_waitcnt lgkmcnt(0)
	v_mul_lo_u32 v6, s0, v4
	v_mul_lo_u32 v7, s1, v5
	v_mad_u64_u32 v[1:2], null, s0, v5, v[1:2]
	v_mul_lo_u32 v4, s28, v4
	v_mul_lo_u32 v8, s29, v5
	v_mad_u64_u32 v[56:57], null, s28, v5, v[56:57]
	v_cmp_ge_u64_e64 s0, s[26:27], s[14:15]
	v_add3_u32 v2, v7, v2, v6
	v_add3_u32 v57, v8, v57, v4
	s_and_b32 vcc_lo, exec_lo, s0
	s_cbranch_vccnz .LBB0_9
; %bb.7:                                ;   in Loop: Header=BB0_2 Depth=1
	v_mov_b32_e32 v5, v58
	v_mov_b32_e32 v6, v59
	s_branch .LBB0_2
.LBB0_8:
	v_mov_b32_e32 v57, v2
	v_mov_b32_e32 v59, v6
	;; [unrolled: 1-line block ×4, first 2 shown]
.LBB0_9:
	s_load_dwordx2 s[0:1], s[4:5], 0x28
	v_mul_hi_u32 v3, 0x4ec4ec5, v0
	s_lshl_b64 s[6:7], s[14:15], 3
                                        ; implicit-def: $vgpr132
	s_add_u32 s4, s18, s6
	s_addc_u32 s5, s19, s7
	s_waitcnt lgkmcnt(0)
	v_cmp_gt_u64_e32 vcc_lo, s[0:1], v[58:59]
	v_cmp_le_u64_e64 s0, s[0:1], v[58:59]
	s_and_saveexec_b32 s1, s0
	s_xor_b32 s0, exec_lo, s1
; %bb.10:
	v_mul_u32_u24_e32 v1, 52, v3
                                        ; implicit-def: $vgpr3
	v_sub_nc_u32_e32 v132, v0, v1
                                        ; implicit-def: $vgpr0
                                        ; implicit-def: $vgpr1_vgpr2
; %bb.11:
	s_andn2_saveexec_b32 s1, s0
	s_cbranch_execz .LBB0_13
; %bb.12:
	s_add_u32 s6, s16, s6
	s_addc_u32 s7, s17, s7
	v_mul_u32_u24_e32 v3, 52, v3
	s_load_dwordx2 s[6:7], s[6:7], 0x0
	v_sub_nc_u32_e32 v132, v0, v3
	v_lshlrev_b64 v[0:1], 4, v[1:2]
	v_mad_u64_u32 v[3:4], null, s20, v132, 0
	v_add_nc_u32_e32 v16, 52, v132
	v_add_nc_u32_e32 v17, 0x68, v132
	;; [unrolled: 1-line block ×5, first 2 shown]
	v_mad_u64_u32 v[7:8], null, s20, v16, 0
	v_mov_b32_e32 v2, v4
	v_mad_u64_u32 v[9:10], null, s20, v17, 0
	s_waitcnt lgkmcnt(0)
	v_mul_lo_u32 v4, s7, v58
	v_mul_lo_u32 v14, s6, v59
	v_mad_u64_u32 v[5:6], null, s6, v58, 0
	v_mad_u64_u32 v[11:12], null, s21, v132, v[2:3]
	v_mov_b32_e32 v2, v8
	v_mov_b32_e32 v8, v10
	v_mad_u64_u32 v[12:13], null, s20, v18, 0
	v_add3_u32 v6, v6, v14, v4
	v_mad_u64_u32 v[14:15], null, s20, v20, 0
	v_mov_b32_e32 v4, v11
	v_mad_u64_u32 v[10:11], null, s21, v16, v[2:3]
	v_lshlrev_b64 v[5:6], 4, v[5:6]
	v_mad_u64_u32 v[16:17], null, s21, v17, v[8:9]
	v_lshlrev_b64 v[2:3], 4, v[3:4]
	v_add_nc_u32_e32 v11, 0x104, v132
	v_lshl_add_u32 v28, v132, 4, 0
	v_add_co_u32 v4, s0, s8, v5
	v_add_co_ci_u32_e64 v5, s0, s9, v6, s0
	v_mov_b32_e32 v8, v10
	v_add_co_u32 v24, s0, v4, v0
	v_add_co_ci_u32_e64 v25, s0, v5, v1, s0
	v_lshlrev_b64 v[0:1], 4, v[7:8]
	v_add_co_u32 v2, s0, v24, v2
	v_add_co_ci_u32_e64 v3, s0, v25, v3, s0
	v_mov_b32_e32 v10, v16
	v_add_co_u32 v4, s0, v24, v0
	v_add_co_ci_u32_e64 v5, s0, v25, v1, s0
	v_mov_b32_e32 v0, v13
	v_mov_b32_e32 v1, v15
	v_mad_u64_u32 v[16:17], null, s20, v11, 0
	v_lshlrev_b64 v[9:10], 4, v[9:10]
	v_mad_u64_u32 v[18:19], null, s21, v18, v[0:1]
	v_mad_u64_u32 v[19:20], null, s21, v20, v[1:2]
	;; [unrolled: 1-line block ×3, first 2 shown]
	v_mov_b32_e32 v8, v17
	s_clause 0x1
	global_load_dwordx4 v[0:3], v[2:3], off
	global_load_dwordx4 v[4:7], v[4:5], off
	v_mov_b32_e32 v13, v18
	v_mov_b32_e32 v15, v19
	v_mad_u64_u32 v[17:18], null, s21, v11, v[8:9]
	v_mov_b32_e32 v8, v21
	v_add_co_u32 v9, s0, v24, v9
	v_lshlrev_b64 v[11:12], 4, v[12:13]
	v_lshlrev_b64 v[13:14], 4, v[14:15]
	v_add_co_ci_u32_e64 v10, s0, v25, v10, s0
	v_mad_u64_u32 v[18:19], null, s21, v22, v[8:9]
	v_add_co_u32 v22, s0, v24, v11
	v_add_co_ci_u32_e64 v23, s0, v25, v12, s0
	v_lshlrev_b64 v[11:12], 4, v[16:17]
	v_add_co_u32 v16, s0, v24, v13
	v_mov_b32_e32 v21, v18
	v_add_co_ci_u32_e64 v17, s0, v25, v14, s0
	v_lshlrev_b64 v[13:14], 4, v[20:21]
	v_add_co_u32 v20, s0, v24, v11
	v_add_co_ci_u32_e64 v21, s0, v25, v12, s0
	v_add_co_u32 v24, s0, v24, v13
	v_add_co_ci_u32_e64 v25, s0, v25, v14, s0
	s_clause 0x4
	global_load_dwordx4 v[8:11], v[9:10], off
	global_load_dwordx4 v[12:15], v[22:23], off
	;; [unrolled: 1-line block ×5, first 2 shown]
	s_waitcnt vmcnt(6)
	ds_write_b128 v28, v[0:3]
	s_waitcnt vmcnt(5)
	ds_write_b128 v28, v[4:7] offset:832
	s_waitcnt vmcnt(4)
	ds_write_b128 v28, v[8:11] offset:1664
	;; [unrolled: 2-line block ×6, first 2 shown]
.LBB0_13:
	s_or_b32 exec_lo, exec_lo, s1
	v_lshl_add_u32 v133, v132, 4, 0
	s_waitcnt lgkmcnt(0)
	s_barrier
	buffer_gl0_inv
	s_mov_b32 s6, 0x4bc48dbf
	ds_read_b128 v[4:7], v133 offset:5376
	ds_read_b128 v[36:39], v133 offset:448
	;; [unrolled: 1-line block ×3, first 2 shown]
	ds_read_b128 v[16:19], v133
	ds_read_b128 v[52:55], v133 offset:896
	s_mov_b32 s7, 0xbfcea1e5
	ds_read_b128 v[44:47], v133 offset:1344
	ds_read_b128 v[12:15], v133 offset:4480
	s_mov_b32 s8, 0x93053d00
	s_mov_b32 s14, 0x4267c47c
	s_mov_b32 s9, 0xbfef11f4
	s_mov_b32 s15, 0x3fddbe06
	ds_read_b128 v[20:23], v133 offset:4032
	ds_read_b128 v[48:51], v133 offset:1792
	s_mov_b32 s16, 0xe00740e9
	s_mov_b32 s18, 0x24c2f84
	s_mov_b32 s17, 0x3fec55a7
	;; [unrolled: 6-line block ×3, first 2 shown]
	s_waitcnt lgkmcnt(9)
	v_add_f64 v[104:105], v[38:39], -v[6:7]
	v_add_f64 v[94:95], v[36:37], -v[4:5]
	v_add_f64 v[96:97], v[36:37], v[4:5]
	s_waitcnt lgkmcnt(6)
	v_add_f64 v[84:85], v[54:55], -v[10:11]
	v_add_f64 v[106:107], v[38:39], v[6:7]
	v_add_f64 v[62:63], v[52:53], -v[8:9]
	v_add_f64 v[74:75], v[52:53], v[8:9]
	v_add_f64 v[98:99], v[54:55], v[10:11]
	s_waitcnt lgkmcnt(4)
	v_add_f64 v[86:87], v[46:47], -v[14:15]
	v_add_f64 v[70:71], v[44:45], -v[12:13]
	v_add_f64 v[82:83], v[44:45], v[12:13]
	v_add_f64 v[100:101], v[46:47], v[14:15]
	s_waitcnt lgkmcnt(2)
	v_add_f64 v[88:89], v[50:51], -v[22:23]
	v_add_f64 v[60:61], v[48:49], -v[20:21]
	s_mov_b32 s25, 0x3fea55e2
	v_add_f64 v[76:77], v[48:49], v[20:21]
	v_add_f64 v[102:103], v[50:51], v[22:23]
	s_waitcnt lgkmcnt(0)
	v_add_f64 v[80:81], v[42:43], -v[26:27]
	v_add_f64 v[64:65], v[40:41], -v[24:25]
	ds_read_b128 v[32:35], v133 offset:2688
	ds_read_b128 v[28:31], v133 offset:3136
	s_mov_b32 s22, 0x1ea71119
	s_mov_b32 s34, 0x2ef20147
	v_mul_f64 v[122:123], v[104:105], s[6:7]
	v_mul_f64 v[124:125], v[94:95], s[6:7]
	s_mov_b32 s23, 0x3fe22d96
	v_mul_f64 v[118:119], v[84:85], s[14:15]
	s_mov_b32 s35, 0xbfedeba7
	v_mul_f64 v[126:127], v[62:63], s[14:15]
	v_add_f64 v[92:93], v[42:43], v[26:27]
	s_mov_b32 s30, 0xb2365da1
	v_mul_f64 v[116:117], v[86:87], s[18:19]
	v_mul_f64 v[120:121], v[70:71], s[18:19]
	s_mov_b32 s28, 0x66966769
	s_mov_b32 s31, 0xbfd6b1d8
	v_mul_f64 v[128:129], v[88:89], s[24:25]
	v_mul_f64 v[130:131], v[60:61], s[24:25]
	s_mov_b32 s29, 0x3fefc445
	s_mov_b32 s26, 0xebaa3ed8
	;; [unrolled: 1-line block ×3, first 2 shown]
	s_waitcnt lgkmcnt(0)
	v_add_f64 v[78:79], v[34:35], -v[30:31]
	v_mul_f64 v[110:111], v[80:81], s[34:35]
	v_mul_f64 v[114:115], v[64:65], s[34:35]
	s_mov_b32 s33, exec_lo
	v_fma_f64 v[0:1], v[96:97], s[8:9], v[122:123]
	v_fma_f64 v[2:3], v[106:107], s[8:9], -v[124:125]
	s_barrier
	v_fma_f64 v[66:67], v[74:75], s[16:17], v[118:119]
	buffer_gl0_inv
	v_fma_f64 v[68:69], v[98:99], s[16:17], -v[126:127]
	v_fma_f64 v[72:73], v[82:83], s[20:21], v[116:117]
	v_fma_f64 v[90:91], v[100:101], s[20:21], -v[120:121]
	v_fma_f64 v[134:135], v[76:77], s[22:23], v[128:129]
	v_fma_f64 v[136:137], v[102:103], s[22:23], -v[130:131]
	v_mul_f64 v[108:109], v[78:79], s[28:29]
	v_fma_f64 v[140:141], v[92:93], s[30:31], -v[114:115]
	v_add_f64 v[0:1], v[16:17], v[0:1]
	v_add_f64 v[2:3], v[18:19], v[2:3]
	;; [unrolled: 1-line block ×5, first 2 shown]
	v_add_f64 v[66:67], v[32:33], -v[28:29]
	v_add_f64 v[0:1], v[72:73], v[0:1]
	v_add_f64 v[2:3], v[90:91], v[2:3]
	;; [unrolled: 1-line block ×4, first 2 shown]
	v_mul_f64 v[112:113], v[66:67], s[28:29]
	v_fma_f64 v[138:139], v[68:69], s[30:31], v[110:111]
	v_add_f64 v[0:1], v[134:135], v[0:1]
	v_add_f64 v[2:3], v[136:137], v[2:3]
	v_fma_f64 v[134:135], v[72:73], s[26:27], v[108:109]
	v_fma_f64 v[136:137], v[90:91], s[26:27], -v[112:113]
	v_add_f64 v[0:1], v[138:139], v[0:1]
	v_add_f64 v[2:3], v[140:141], v[2:3]
	;; [unrolled: 1-line block ×4, first 2 shown]
	v_cmpx_gt_u32_e32 28, v132
	s_cbranch_execz .LBB0_15
; %bb.14:
	v_add_f64 v[38:39], v[18:19], v[38:39]
	v_add_f64 v[36:37], v[16:17], v[36:37]
	v_mul_f64 v[134:135], v[106:107], s[20:21]
	v_mul_f64 v[136:137], v[104:105], s[18:19]
	s_mov_b32 s37, 0x3fe5384d
	s_mov_b32 s36, s18
	v_mul_f64 v[138:139], v[92:93], s[30:31]
	v_mul_f64 v[140:141], v[68:69], s[30:31]
	s_mov_b32 s1, 0x3fedeba7
	s_mov_b32 s0, s34
	;; [unrolled: 1-line block ×6, first 2 shown]
	v_mul_f64 v[142:143], v[72:73], s[26:27]
	s_mov_b32 s43, 0x3fcea1e5
	s_mov_b32 s42, s6
	;; [unrolled: 1-line block ×4, first 2 shown]
	v_add_f64 v[38:39], v[38:39], v[54:55]
	v_add_f64 v[36:37], v[36:37], v[52:53]
	v_mul_f64 v[52:53], v[106:107], s[8:9]
	v_mul_f64 v[54:55], v[96:97], s[8:9]
	v_add_f64 v[114:115], v[114:115], v[138:139]
	v_mul_f64 v[138:139], v[84:85], s[36:37]
	v_add_f64 v[110:111], v[140:141], -v[110:111]
	v_add_f64 v[108:109], v[142:143], -v[108:109]
	v_mul_f64 v[142:143], v[102:103], s[8:9]
	v_add_f64 v[38:39], v[38:39], v[46:47]
	v_add_f64 v[36:37], v[36:37], v[44:45]
	v_mul_f64 v[44:45], v[98:99], s[16:17]
	v_mul_f64 v[46:47], v[74:75], s[16:17]
	v_add_f64 v[52:53], v[124:125], v[52:53]
	v_add_f64 v[54:55], v[54:55], -v[122:123]
	v_mul_f64 v[122:123], v[102:103], s[22:23]
	v_mul_f64 v[124:125], v[76:77], s[22:23]
	v_add_f64 v[38:39], v[38:39], v[50:51]
	v_add_f64 v[36:37], v[36:37], v[48:49]
	v_mul_f64 v[48:49], v[100:101], s[20:21]
	v_mul_f64 v[50:51], v[82:83], s[20:21]
	v_add_f64 v[44:45], v[126:127], v[44:45]
	v_add_f64 v[46:47], v[46:47], -v[118:119]
	v_add_f64 v[52:53], v[18:19], v[52:53]
	v_add_f64 v[54:55], v[16:17], v[54:55]
	v_mul_f64 v[126:127], v[90:91], s[26:27]
	v_mul_f64 v[118:119], v[98:99], s[26:27]
	v_add_f64 v[122:123], v[130:131], v[122:123]
	v_fma_f64 v[130:131], v[94:95], s[36:37], v[134:135]
	v_add_f64 v[124:125], v[124:125], -v[128:129]
	v_fma_f64 v[128:129], v[96:97], s[20:21], v[136:137]
	v_fma_f64 v[134:135], v[94:95], s[18:19], v[134:135]
	v_fma_f64 v[136:137], v[96:97], s[20:21], -v[136:137]
	v_add_f64 v[38:39], v[38:39], v[42:43]
	v_add_f64 v[36:37], v[36:37], v[40:41]
	v_mul_f64 v[40:41], v[106:107], s[30:31]
	v_mul_f64 v[42:43], v[84:85], s[28:29]
	v_add_f64 v[48:49], v[120:121], v[48:49]
	v_add_f64 v[50:51], v[50:51], -v[116:117]
	v_mul_f64 v[116:117], v[104:105], s[34:35]
	v_add_f64 v[44:45], v[44:45], v[52:53]
	v_add_f64 v[46:47], v[46:47], v[54:55]
	v_mul_f64 v[120:121], v[100:101], s[22:23]
	v_mul_f64 v[52:53], v[98:99], s[20:21]
	;; [unrolled: 1-line block ×3, first 2 shown]
	v_add_f64 v[112:113], v[112:113], v[126:127]
	v_add_f64 v[130:131], v[18:19], v[130:131]
	;; [unrolled: 1-line block ×7, first 2 shown]
	v_fma_f64 v[36:37], v[62:63], s[38:39], v[118:119]
	v_fma_f64 v[38:39], v[94:95], s[0:1], v[40:41]
	v_fma_f64 v[126:127], v[74:75], s[26:27], v[42:43]
	v_fma_f64 v[118:119], v[62:63], s[28:29], v[118:119]
	v_fma_f64 v[140:141], v[96:97], s[30:31], v[116:117]
	v_add_f64 v[44:45], v[48:49], v[44:45]
	v_add_f64 v[46:47], v[50:51], v[46:47]
	v_fma_f64 v[40:41], v[94:95], s[34:35], v[40:41]
	v_mul_f64 v[48:49], v[100:101], s[16:17]
	v_mul_f64 v[50:51], v[88:89], s[42:43]
	v_fma_f64 v[42:43], v[74:75], s[26:27], -v[42:43]
	v_fma_f64 v[116:117], v[96:97], s[30:31], -v[116:117]
	v_add_f64 v[34:35], v[34:35], v[30:31]
	v_add_f64 v[32:33], v[32:33], v[28:29]
	v_fma_f64 v[28:29], v[62:63], s[18:19], v[52:53]
	v_fma_f64 v[30:31], v[74:75], s[20:21], v[138:139]
	v_add_f64 v[38:39], v[18:19], v[38:39]
	v_add_f64 v[36:37], v[36:37], v[130:131]
	v_add_f64 v[140:141], v[16:17], v[140:141]
	v_fma_f64 v[130:131], v[70:71], s[24:25], v[120:121]
	v_add_f64 v[126:127], v[126:127], v[128:129]
	v_fma_f64 v[128:129], v[82:83], s[22:23], v[54:55]
	v_add_f64 v[118:119], v[118:119], v[134:135]
	;; [unrolled: 2-line block ×3, first 2 shown]
	v_mul_f64 v[122:123], v[106:107], s[26:27]
	v_add_f64 v[46:47], v[124:125], v[46:47]
	v_mul_f64 v[124:125], v[86:87], s[14:15]
	v_fma_f64 v[52:53], v[62:63], s[36:37], v[52:53]
	v_add_f64 v[40:41], v[18:19], v[40:41]
	v_mul_f64 v[134:135], v[92:93], s[16:17]
	v_fma_f64 v[138:139], v[74:75], s[20:21], -v[138:139]
	v_add_f64 v[116:117], v[16:17], v[116:117]
	v_add_f64 v[42:43], v[42:43], v[136:137]
	v_mul_f64 v[136:137], v[102:103], s[26:27]
	v_fma_f64 v[54:55], v[82:83], s[22:23], -v[54:55]
	v_add_f64 v[26:27], v[34:35], v[26:27]
	v_add_f64 v[24:25], v[32:33], v[24:25]
	;; [unrolled: 1-line block ×3, first 2 shown]
	v_fma_f64 v[38:39], v[70:71], s[44:45], v[48:49]
	v_add_f64 v[140:141], v[30:31], v[140:141]
	v_fma_f64 v[30:31], v[60:61], s[6:7], v[142:143]
	v_add_f64 v[36:37], v[130:131], v[36:37]
	;; [unrolled: 2-line block ×3, first 2 shown]
	v_mul_f64 v[128:129], v[80:81], s[14:15]
	v_add_f64 v[118:119], v[120:121], v[118:119]
	v_mul_f64 v[120:121], v[98:99], s[8:9]
	v_fma_f64 v[142:143], v[60:61], s[42:43], v[142:143]
	v_add_f64 v[44:45], v[114:115], v[44:45]
	v_fma_f64 v[114:115], v[94:95], s[28:29], v[122:123]
	v_add_f64 v[46:47], v[110:111], v[46:47]
	v_mul_f64 v[110:111], v[88:89], s[38:39]
	v_add_f64 v[40:41], v[52:53], v[40:41]
	v_fma_f64 v[52:53], v[82:83], s[16:17], v[124:125]
	v_add_f64 v[116:117], v[138:139], v[116:117]
	v_mul_f64 v[138:139], v[92:93], s[8:9]
	v_fma_f64 v[48:49], v[70:71], s[14:15], v[48:49]
	v_fma_f64 v[50:51], v[76:77], s[8:9], -v[50:51]
	v_add_f64 v[42:43], v[54:55], v[42:43]
	v_mul_f64 v[54:55], v[104:105], s[38:39]
	v_add_f64 v[38:39], v[38:39], v[28:29]
	v_fma_f64 v[144:145], v[60:61], s[28:29], v[136:137]
	v_fma_f64 v[146:147], v[64:65], s[44:45], v[134:135]
	v_add_f64 v[36:37], v[30:31], v[36:37]
	v_fma_f64 v[134:135], v[64:65], s[14:15], v[134:135]
	v_add_f64 v[126:127], v[130:131], v[126:127]
	v_fma_f64 v[130:131], v[68:69], s[16:17], v[128:129]
	v_fma_f64 v[124:125], v[82:83], s[16:17], -v[124:125]
	v_fma_f64 v[122:123], v[94:95], s[38:39], v[122:123]
	v_add_f64 v[118:119], v[142:143], v[118:119]
	v_fma_f64 v[142:143], v[62:63], s[42:43], v[120:121]
	v_add_f64 v[114:115], v[18:19], v[114:115]
	v_add_f64 v[30:31], v[112:113], v[44:45]
	;; [unrolled: 1-line block ×3, first 2 shown]
	v_mul_f64 v[44:45], v[100:101], s[30:31]
	v_fma_f64 v[46:47], v[76:77], s[26:27], v[110:111]
	v_add_f64 v[52:53], v[52:53], v[140:141]
	v_mul_f64 v[108:109], v[80:81], s[42:43]
	v_fma_f64 v[112:113], v[60:61], s[38:39], v[136:137]
	v_add_f64 v[40:41], v[48:49], v[40:41]
	v_mul_f64 v[48:49], v[84:85], s[6:7]
	v_add_f64 v[42:43], v[50:51], v[42:43]
	v_fma_f64 v[50:51], v[96:97], s[26:27], v[54:55]
	v_add_f64 v[38:39], v[144:145], v[38:39]
	v_fma_f64 v[110:111], v[76:77], s[26:27], -v[110:111]
	v_mul_f64 v[136:137], v[106:107], s[22:23]
	v_fma_f64 v[120:121], v[62:63], s[6:7], v[120:121]
	v_fma_f64 v[54:55], v[96:97], s[26:27], -v[54:55]
	v_add_f64 v[126:127], v[130:131], v[126:127]
	v_fma_f64 v[130:131], v[64:65], s[6:7], v[138:139]
	v_add_f64 v[116:117], v[124:125], v[116:117]
	v_add_f64 v[118:119], v[134:135], v[118:119]
	v_mul_f64 v[134:135], v[102:103], s[16:17]
	v_add_f64 v[114:115], v[142:143], v[114:115]
	v_add_f64 v[122:123], v[18:19], v[122:123]
	v_fma_f64 v[128:129], v[68:69], s[16:17], -v[128:129]
	v_fma_f64 v[124:125], v[70:71], s[34:35], v[44:45]
	v_mul_f64 v[140:141], v[104:105], s[40:41]
	v_add_f64 v[46:47], v[46:47], v[52:53]
	v_fma_f64 v[52:53], v[68:69], s[8:9], v[108:109]
	v_mul_f64 v[142:143], v[86:87], s[0:1]
	v_add_f64 v[40:41], v[112:113], v[40:41]
	v_fma_f64 v[112:113], v[64:65], s[42:43], v[138:139]
	v_fma_f64 v[138:139], v[74:75], s[8:9], v[48:49]
	v_add_f64 v[50:51], v[16:17], v[50:51]
	v_mul_f64 v[106:107], v[106:107], s[16:17]
	v_mul_f64 v[104:105], v[104:105], s[44:45]
	v_fma_f64 v[44:45], v[70:71], s[0:1], v[44:45]
	v_fma_f64 v[48:49], v[74:75], s[8:9], -v[48:49]
	v_add_f64 v[54:55], v[16:17], v[54:55]
	v_fma_f64 v[108:109], v[68:69], s[8:9], -v[108:109]
	v_add_f64 v[38:39], v[130:131], v[38:39]
	v_add_f64 v[110:111], v[110:111], v[116:117]
	v_mul_f64 v[116:117], v[98:99], s[30:31]
	v_mul_f64 v[130:131], v[92:93], s[22:23]
	;; [unrolled: 1-line block ×3, first 2 shown]
	v_add_f64 v[120:121], v[120:121], v[122:123]
	v_add_f64 v[42:43], v[128:129], v[42:43]
	v_add_f64 v[114:115], v[124:125], v[114:115]
	v_fma_f64 v[124:125], v[60:61], s[44:45], v[134:135]
	v_fma_f64 v[128:129], v[96:97], s[22:23], v[140:141]
	v_add_f64 v[46:47], v[52:53], v[46:47]
	v_fma_f64 v[52:53], v[94:95], s[24:25], v[136:137]
	v_fma_f64 v[122:123], v[82:83], s[30:31], v[142:143]
	v_add_f64 v[40:41], v[112:113], v[40:41]
	v_fma_f64 v[112:113], v[94:95], s[40:41], v[136:137]
	v_add_f64 v[50:51], v[138:139], v[50:51]
	v_fma_f64 v[138:139], v[94:95], s[14:15], v[106:107]
	v_fma_f64 v[94:95], v[94:95], s[44:45], v[106:107]
	v_fma_f64 v[106:107], v[96:97], s[22:23], -v[140:141]
	v_fma_f64 v[32:33], v[96:97], s[16:17], v[104:105]
	v_fma_f64 v[34:35], v[96:97], s[16:17], -v[104:105]
	v_mul_f64 v[96:97], v[84:85], s[34:35]
	v_mul_f64 v[140:141], v[100:101], s[8:9]
	v_add_f64 v[48:49], v[48:49], v[54:55]
	v_fma_f64 v[104:105], v[62:63], s[0:1], v[116:117]
	v_fma_f64 v[54:55], v[82:83], s[30:31], -v[142:143]
	v_mul_f64 v[84:85], v[84:85], s[40:41]
	v_add_f64 v[44:45], v[44:45], v[120:121]
	v_fma_f64 v[120:121], v[64:65], s[24:25], v[130:131]
	v_add_f64 v[108:109], v[108:109], v[110:111]
	v_add_f64 v[114:115], v[124:125], v[114:115]
	;; [unrolled: 1-line block ×3, first 2 shown]
	v_fma_f64 v[128:129], v[60:61], s[14:15], v[134:135]
	v_add_f64 v[52:53], v[18:19], v[52:53]
	v_mul_f64 v[100:101], v[100:101], s[26:27]
	v_add_f64 v[22:23], v[26:27], v[22:23]
	v_add_f64 v[112:113], v[18:19], v[112:113]
	;; [unrolled: 1-line block ×4, first 2 shown]
	v_mul_f64 v[138:139], v[86:87], s[6:7]
	v_add_f64 v[106:107], v[16:17], v[106:107]
	v_add_f64 v[18:19], v[18:19], v[94:95]
	v_fma_f64 v[94:95], v[62:63], s[34:35], v[116:117]
	v_fma_f64 v[142:143], v[74:75], s[30:31], v[96:97]
	v_mul_f64 v[116:117], v[78:79], s[34:35]
	v_add_f64 v[32:33], v[16:17], v[32:33]
	v_add_f64 v[16:17], v[16:17], v[34:35]
	;; [unrolled: 1-line block ×3, first 2 shown]
	v_fma_f64 v[54:55], v[74:75], s[30:31], -v[96:97]
	v_fma_f64 v[26:27], v[74:75], s[22:23], -v[84:85]
	v_mul_f64 v[86:87], v[86:87], s[38:39]
	v_fma_f64 v[74:75], v[74:75], s[22:23], v[84:85]
	v_add_f64 v[110:111], v[120:121], v[114:115]
	v_fma_f64 v[114:115], v[62:63], s[40:41], v[98:99]
	v_fma_f64 v[62:63], v[62:63], s[24:25], v[98:99]
	v_add_f64 v[52:53], v[104:105], v[52:53]
	v_fma_f64 v[104:105], v[70:71], s[42:43], v[140:141]
	v_mul_f64 v[84:85], v[102:103], s[20:21]
	v_mul_f64 v[102:103], v[102:103], s[30:31]
	v_mul_f64 v[136:137], v[88:89], s[14:15]
	v_add_f64 v[50:51], v[122:123], v[50:51]
	v_fma_f64 v[96:97], v[82:83], s[8:9], v[138:139]
	v_add_f64 v[14:15], v[22:23], v[14:15]
	v_add_f64 v[12:13], v[20:21], v[12:13]
	;; [unrolled: 1-line block ×4, first 2 shown]
	v_fma_f64 v[112:113], v[72:73], s[30:31], -v[116:117]
	v_fma_f64 v[124:125], v[82:83], s[8:9], -v[138:139]
	v_mul_f64 v[22:23], v[80:81], s[18:19]
	v_add_f64 v[44:45], v[128:129], v[44:45]
	v_add_f64 v[54:55], v[54:55], v[106:107]
	v_mul_f64 v[106:107], v[88:89], s[34:35]
	v_add_f64 v[16:17], v[26:27], v[16:17]
	v_fma_f64 v[26:27], v[82:83], s[26:27], -v[86:87]
	v_mul_f64 v[88:89], v[88:89], s[36:37]
	v_add_f64 v[18:19], v[114:115], v[18:19]
	v_fma_f64 v[114:115], v[70:71], s[38:39], v[100:101]
	v_add_f64 v[62:63], v[62:63], v[134:135]
	v_add_f64 v[24:25], v[104:105], v[52:53]
	v_fma_f64 v[104:105], v[72:73], s[30:31], v[116:117]
	v_fma_f64 v[116:117], v[70:71], s[6:7], v[140:141]
	;; [unrolled: 1-line block ×4, first 2 shown]
	v_add_f64 v[32:33], v[74:75], v[32:33]
	v_fma_f64 v[122:123], v[76:77], s[16:17], v[136:137]
	v_mul_f64 v[74:75], v[80:81], s[40:41]
	v_fma_f64 v[134:135], v[76:77], s[16:17], -v[136:137]
	v_mul_f64 v[80:81], v[80:81], s[28:29]
	v_add_f64 v[96:97], v[96:97], v[120:121]
	v_mul_f64 v[128:129], v[78:79], s[18:19]
	v_mul_f64 v[34:35], v[90:91], s[30:31]
	;; [unrolled: 1-line block ×3, first 2 shown]
	v_add_f64 v[54:55], v[124:125], v[54:55]
	v_fma_f64 v[124:125], v[60:61], s[34:35], v[102:103]
	v_mul_f64 v[100:101], v[90:91], s[20:21]
	v_add_f64 v[16:17], v[26:27], v[16:17]
	v_fma_f64 v[26:27], v[76:77], s[30:31], -v[106:107]
	v_fma_f64 v[20:21], v[76:77], s[20:21], -v[88:89]
	v_add_f64 v[18:19], v[114:115], v[18:19]
	v_fma_f64 v[114:115], v[60:61], s[36:37], v[84:85]
	v_fma_f64 v[84:85], v[60:61], s[18:19], v[84:85]
	;; [unrolled: 1-line block ×3, first 2 shown]
	v_add_f64 v[94:95], v[116:117], v[94:95]
	v_mul_f64 v[116:117], v[92:93], s[26:27]
	v_mul_f64 v[92:93], v[92:93], s[20:21]
	v_fma_f64 v[60:61], v[60:61], s[0:1], v[102:103]
	v_add_f64 v[62:63], v[70:71], v[62:63]
	v_fma_f64 v[76:77], v[76:77], s[30:31], v[106:107]
	v_add_f64 v[32:33], v[82:83], v[32:33]
	v_add_f64 v[50:51], v[122:123], v[50:51]
	v_mul_f64 v[122:123], v[90:91], s[22:23]
	v_mul_f64 v[82:83], v[90:91], s[16:17]
	;; [unrolled: 1-line block ×3, first 2 shown]
	v_add_f64 v[48:49], v[134:135], v[48:49]
	v_fma_f64 v[134:135], v[68:69], s[26:27], -v[80:81]
	v_fma_f64 v[106:107], v[68:69], s[22:23], v[74:75]
	v_fma_f64 v[130:131], v[64:65], s[40:41], v[130:131]
	v_fma_f64 v[74:75], v[68:69], s[22:23], -v[74:75]
	v_add_f64 v[16:17], v[26:27], v[16:17]
	v_add_f64 v[20:21], v[20:21], v[54:55]
	;; [unrolled: 1-line block ×3, first 2 shown]
	v_fma_f64 v[54:55], v[68:69], s[20:21], -v[22:23]
	v_add_f64 v[24:25], v[84:85], v[24:25]
	v_fma_f64 v[80:81], v[68:69], s[26:27], v[80:81]
	v_add_f64 v[94:95], v[114:115], v[94:95]
	v_fma_f64 v[124:125], v[64:65], s[28:29], v[116:117]
	v_mul_f64 v[114:115], v[78:79], s[14:15]
	v_fma_f64 v[26:27], v[64:65], s[18:19], v[92:93]
	v_mul_f64 v[78:79], v[78:79], s[6:7]
	v_fma_f64 v[116:117], v[64:65], s[38:39], v[116:117]
	v_add_f64 v[84:85], v[88:89], v[96:97]
	v_fma_f64 v[64:65], v[64:65], s[36:37], v[92:93]
	v_add_f64 v[60:61], v[60:61], v[62:63]
	v_fma_f64 v[22:23], v[68:69], s[20:21], v[22:23]
	v_add_f64 v[32:33], v[76:77], v[32:33]
	v_fma_f64 v[70:71], v[72:73], s[20:21], v[128:129]
	v_fma_f64 v[62:63], v[72:73], s[20:21], -v[128:129]
	v_add_f64 v[128:129], v[12:13], v[8:9]
	v_fma_f64 v[98:99], v[66:67], s[0:1], v[34:35]
	v_fma_f64 v[34:35], v[66:67], s[34:35], v[34:35]
	;; [unrolled: 1-line block ×4, first 2 shown]
	v_add_f64 v[20:21], v[134:135], v[20:21]
	v_add_f64 v[16:17], v[54:55], v[16:17]
	v_fma_f64 v[102:103], v[66:67], s[36:37], v[100:101]
	v_fma_f64 v[100:101], v[66:67], s[18:19], v[100:101]
	v_add_f64 v[44:45], v[130:131], v[44:45]
	v_add_f64 v[76:77], v[124:125], v[94:95]
	;; [unrolled: 1-line block ×4, first 2 shown]
	v_fma_f64 v[96:97], v[72:73], s[8:9], -v[78:79]
	v_fma_f64 v[88:89], v[72:73], s[16:17], -v[114:115]
	v_add_f64 v[48:49], v[74:75], v[48:49]
	v_fma_f64 v[120:121], v[66:67], s[40:41], v[122:123]
	v_fma_f64 v[86:87], v[72:73], s[22:23], v[52:53]
	;; [unrolled: 1-line block ×3, first 2 shown]
	v_fma_f64 v[52:53], v[72:73], s[22:23], -v[52:53]
	v_add_f64 v[36:37], v[146:147], v[36:37]
	v_add_f64 v[50:51], v[106:107], v[50:51]
	v_fma_f64 v[54:55], v[66:67], s[44:45], v[82:83]
	v_add_f64 v[74:75], v[116:117], v[24:25]
	v_fma_f64 v[82:83], v[72:73], s[16:17], v[114:115]
	;; [unrolled: 2-line block ×4, first 2 shown]
	v_add_f64 v[72:73], v[22:23], v[32:33]
	v_add_f64 v[4:5], v[128:129], v[4:5]
	;; [unrolled: 1-line block ×23, first 2 shown]
	v_mad_u32_u24 v52, 0xc0, v132, v133
	ds_write_b128 v52, v[4:7]
	ds_write_b128 v52, v[32:35] offset:16
	ds_write_b128 v52, v[24:27] offset:32
	;; [unrolled: 1-line block ×12, first 2 shown]
.LBB0_15:
	s_or_b32 exec_lo, exec_lo, s33
	v_and_b32_e32 v4, 0xff, v132
	v_mov_b32_e32 v5, 6
	s_load_dwordx2 s[4:5], s[4:5], 0x0
	s_waitcnt lgkmcnt(0)
	s_barrier
	v_mul_lo_u16 v4, 0x4f, v4
	buffer_gl0_inv
	s_mov_b32 s0, 0x37e14327
	s_mov_b32 s1, 0x3fe948f6
	;; [unrolled: 1-line block ×3, first 2 shown]
	v_lshrrev_b16 v68, 10, v4
	s_mov_b32 s8, 0xe976ee23
	s_mov_b32 s7, 0x3fac98ee
	;; [unrolled: 1-line block ×4, first 2 shown]
	v_mul_lo_u16 v4, v68, 13
	s_mov_b32 s14, 0x5476071b
	s_mov_b32 s17, 0x3fd5d0dc
	s_mov_b32 s16, 0xb247c609
	v_sub_nc_u16 v69, v132, v4
	v_mul_u32_u24_sdwa v4, v69, v5 dst_sel:DWORD dst_unused:UNUSED_PAD src0_sel:BYTE_0 src1_sel:DWORD
	v_lshlrev_b32_e32 v24, 4, v4
	s_clause 0x5
	global_load_dwordx4 v[4:7], v24, s[12:13]
	global_load_dwordx4 v[8:11], v24, s[12:13] offset:16
	global_load_dwordx4 v[12:15], v24, s[12:13] offset:80
	;; [unrolled: 1-line block ×5, first 2 shown]
	ds_read_b128 v[28:31], v133 offset:832
	ds_read_b128 v[32:35], v133 offset:1664
	ds_read_b128 v[36:39], v133 offset:4992
	ds_read_b128 v[40:43], v133 offset:4160
	ds_read_b128 v[44:47], v133 offset:2496
	ds_read_b128 v[48:51], v133 offset:3328
	s_waitcnt vmcnt(5) lgkmcnt(5)
	v_mul_f64 v[52:53], v[30:31], v[6:7]
	v_mul_f64 v[6:7], v[28:29], v[6:7]
	s_waitcnt vmcnt(4) lgkmcnt(4)
	v_mul_f64 v[54:55], v[34:35], v[10:11]
	v_mul_f64 v[10:11], v[32:33], v[10:11]
	;; [unrolled: 3-line block ×6, first 2 shown]
	v_fma_f64 v[28:29], v[28:29], v[4:5], -v[52:53]
	v_fma_f64 v[4:5], v[30:31], v[4:5], v[6:7]
	v_fma_f64 v[6:7], v[32:33], v[8:9], -v[54:55]
	v_fma_f64 v[8:9], v[34:35], v[8:9], v[10:11]
	;; [unrolled: 2-line block ×6, first 2 shown]
	v_add_f64 v[26:27], v[28:29], v[10:11]
	v_add_f64 v[30:31], v[4:5], v[12:13]
	;; [unrolled: 1-line block ×4, first 2 shown]
	v_add_f64 v[14:15], v[6:7], -v[14:15]
	v_add_f64 v[8:9], v[8:9], -v[16:17]
	v_add_f64 v[36:37], v[18:19], v[22:23]
	v_add_f64 v[38:39], v[20:21], v[24:25]
	v_add_f64 v[16:17], v[22:23], -v[18:19]
	v_add_f64 v[18:19], v[24:25], -v[20:21]
	;; [unrolled: 1-line block ×4, first 2 shown]
	ds_read_b128 v[4:7], v133
	s_waitcnt lgkmcnt(0)
	s_barrier
	buffer_gl0_inv
	v_add_f64 v[20:21], v[32:33], v[26:27]
	v_add_f64 v[22:23], v[34:35], v[30:31]
	v_add_f64 v[24:25], v[26:27], -v[36:37]
	v_add_f64 v[28:29], v[30:31], -v[38:39]
	;; [unrolled: 1-line block ×10, first 2 shown]
	v_add_f64 v[14:15], v[16:17], v[14:15]
	v_add_f64 v[8:9], v[18:19], v[8:9]
	v_add_f64 v[32:33], v[10:11], -v[16:17]
	v_add_f64 v[20:21], v[36:37], v[20:21]
	v_add_f64 v[22:23], v[38:39], v[22:23]
	v_add_f64 v[38:39], v[12:13], -v[18:19]
	v_mul_f64 v[24:25], v[24:25], s[0:1]
	v_mul_f64 v[28:29], v[28:29], s[0:1]
	s_mov_b32 s0, 0x429ad128
	v_mul_f64 v[34:35], v[40:41], s[6:7]
	v_mul_f64 v[36:37], v[42:43], s[6:7]
	;; [unrolled: 1-line block ×4, first 2 shown]
	s_mov_b32 s1, 0x3febfeb5
	s_mov_b32 s8, 0xaaaaaaaa
	v_mul_f64 v[52:53], v[48:49], s[0:1]
	v_mul_f64 v[54:55], v[50:51], s[0:1]
	s_mov_b32 s9, 0xbff2aaaa
	v_add_f64 v[16:17], v[4:5], v[20:21]
	v_add_f64 v[18:19], v[6:7], v[22:23]
	v_add_f64 v[4:5], v[14:15], v[10:11]
	v_add_f64 v[6:7], v[8:9], v[12:13]
	v_fma_f64 v[8:9], v[40:41], s[6:7], v[24:25]
	v_fma_f64 v[10:11], v[42:43], s[6:7], v[28:29]
	v_fma_f64 v[12:13], v[26:27], s[14:15], -v[34:35]
	v_fma_f64 v[14:15], v[30:31], s[14:15], -v[36:37]
	s_mov_b32 s15, 0xbfe77f67
	v_fma_f64 v[34:35], v[32:33], s[16:17], v[44:45]
	v_fma_f64 v[36:37], v[38:39], s[16:17], v[46:47]
	s_mov_b32 s17, 0xbfd5d0dc
	v_fma_f64 v[24:25], v[26:27], s[14:15], -v[24:25]
	v_fma_f64 v[32:33], v[32:33], s[16:17], -v[52:53]
	;; [unrolled: 1-line block ×6, first 2 shown]
	s_mov_b32 s0, 0x37c3f68c
	s_mov_b32 s1, 0x3fdc38aa
	v_mov_b32_e32 v48, 0x5b0
	v_fma_f64 v[20:21], v[20:21], s[8:9], v[16:17]
	v_fma_f64 v[22:23], v[22:23], s[8:9], v[18:19]
	;; [unrolled: 1-line block ×8, first 2 shown]
	v_cmp_gt_u32_e64 s0, 39, v132
	v_add_f64 v[44:45], v[8:9], v[20:21]
	v_add_f64 v[46:47], v[10:11], v[22:23]
	;; [unrolled: 1-line block ×7, first 2 shown]
	v_add_f64 v[22:23], v[46:47], -v[34:35]
	v_add_f64 v[24:25], v[38:39], v[8:9]
	v_add_f64 v[26:27], v[10:11], -v[32:33]
	v_add_f64 v[28:29], v[4:5], -v[42:43]
	v_add_f64 v[30:31], v[40:41], v[6:7]
	v_add_f64 v[4:5], v[42:43], v[4:5]
	v_add_f64 v[6:7], v[6:7], -v[40:41]
	v_add_f64 v[8:9], v[8:9], -v[38:39]
	v_add_f64 v[10:11], v[32:33], v[10:11]
	v_add_f64 v[12:13], v[44:45], -v[36:37]
	v_add_f64 v[14:15], v[34:35], v[46:47]
	v_mov_b32_e32 v32, 4
	v_mul_u32_u24_sdwa v33, v68, v48 dst_sel:DWORD dst_unused:UNUSED_PAD src0_sel:WORD_0 src1_sel:DWORD
	v_lshlrev_b32_sdwa v32, v32, v69 dst_sel:DWORD dst_unused:UNUSED_PAD src0_sel:DWORD src1_sel:BYTE_0
	v_add3_u32 v32, 0, v33, v32
	ds_write_b128 v32, v[16:19]
	ds_write_b128 v32, v[20:23] offset:208
	ds_write_b128 v32, v[24:27] offset:416
	ds_write_b128 v32, v[28:31] offset:624
	ds_write_b128 v32, v[4:7] offset:832
	ds_write_b128 v32, v[8:11] offset:1040
	ds_write_b128 v32, v[12:15] offset:1248
	s_waitcnt lgkmcnt(0)
	s_barrier
	buffer_gl0_inv
	ds_read_b128 v[16:19], v133
	ds_read_b128 v[28:31], v133 offset:1456
	ds_read_b128 v[24:27], v133 offset:2912
	;; [unrolled: 1-line block ×3, first 2 shown]
	s_and_saveexec_b32 s1, s0
	s_cbranch_execz .LBB0_17
; %bb.16:
	ds_read_b128 v[4:7], v133 offset:832
	ds_read_b128 v[8:11], v133 offset:2288
	;; [unrolled: 1-line block ×4, first 2 shown]
.LBB0_17:
	s_or_b32 exec_lo, exec_lo, s1
	v_mul_u32_u24_e32 v32, 3, v132
	v_lshlrev_b32_e32 v40, 4, v32
	s_clause 0x2
	global_load_dwordx4 v[32:35], v40, s[12:13] offset:1248
	global_load_dwordx4 v[36:39], v40, s[12:13] offset:1264
	global_load_dwordx4 v[40:43], v40, s[12:13] offset:1280
	s_waitcnt vmcnt(0) lgkmcnt(0)
	s_barrier
	buffer_gl0_inv
	v_mul_f64 v[44:45], v[30:31], v[34:35]
	v_mul_f64 v[34:35], v[28:29], v[34:35]
	;; [unrolled: 1-line block ×6, first 2 shown]
	v_fma_f64 v[28:29], v[28:29], v[32:33], -v[44:45]
	v_fma_f64 v[30:31], v[30:31], v[32:33], v[34:35]
	v_fma_f64 v[24:25], v[24:25], v[36:37], -v[46:47]
	v_fma_f64 v[26:27], v[26:27], v[36:37], v[38:39]
	;; [unrolled: 2-line block ×3, first 2 shown]
	v_add_f64 v[24:25], v[16:17], -v[24:25]
	v_add_f64 v[26:27], v[18:19], -v[26:27]
	;; [unrolled: 1-line block ×4, first 2 shown]
	v_fma_f64 v[32:33], v[16:17], 2.0, -v[24:25]
	v_fma_f64 v[34:35], v[18:19], 2.0, -v[26:27]
	;; [unrolled: 1-line block ×4, first 2 shown]
	v_add_f64 v[16:17], v[24:25], -v[22:23]
	v_add_f64 v[18:19], v[26:27], v[20:21]
	v_add_f64 v[20:21], v[32:33], -v[28:29]
	v_add_f64 v[22:23], v[34:35], -v[30:31]
	v_fma_f64 v[24:25], v[24:25], 2.0, -v[16:17]
	v_fma_f64 v[26:27], v[26:27], 2.0, -v[18:19]
	;; [unrolled: 1-line block ×4, first 2 shown]
	ds_write_b128 v133, v[24:27] offset:1456
	ds_write_b128 v133, v[20:23] offset:2912
	ds_write_b128 v133, v[28:31]
	ds_write_b128 v133, v[16:19] offset:4368
	s_and_saveexec_b32 s1, s0
	s_cbranch_execz .LBB0_19
; %bb.18:
	v_add_nc_u32_e32 v16, 52, v132
	v_subrev_nc_u32_e32 v17, 39, v132
	v_cndmask_b32_e64 v16, v17, v16, s0
	v_mov_b32_e32 v17, 0
	v_mul_i32_i24_e32 v16, 3, v16
	v_lshlrev_b64 v[16:17], 4, v[16:17]
	v_add_co_u32 v24, s0, s12, v16
	v_add_co_ci_u32_e64 v25, s0, s13, v17, s0
	s_clause 0x2
	global_load_dwordx4 v[16:19], v[24:25], off offset:1264
	global_load_dwordx4 v[20:23], v[24:25], off offset:1248
	;; [unrolled: 1-line block ×3, first 2 shown]
	s_waitcnt vmcnt(2)
	v_mul_f64 v[28:29], v[12:13], v[18:19]
	s_waitcnt vmcnt(1)
	v_mul_f64 v[30:31], v[10:11], v[22:23]
	v_mul_f64 v[22:23], v[8:9], v[22:23]
	s_waitcnt vmcnt(0)
	v_mul_f64 v[32:33], v[0:1], v[26:27]
	v_mul_f64 v[18:19], v[14:15], v[18:19]
	;; [unrolled: 1-line block ×3, first 2 shown]
	v_fma_f64 v[14:15], v[14:15], v[16:17], v[28:29]
	v_fma_f64 v[8:9], v[8:9], v[20:21], -v[30:31]
	v_fma_f64 v[10:11], v[10:11], v[20:21], v[22:23]
	v_fma_f64 v[2:3], v[2:3], v[24:25], v[32:33]
	v_fma_f64 v[12:13], v[12:13], v[16:17], -v[18:19]
	v_fma_f64 v[0:1], v[0:1], v[24:25], -v[26:27]
	v_add_f64 v[14:15], v[6:7], -v[14:15]
	v_add_f64 v[16:17], v[10:11], -v[2:3]
	;; [unrolled: 1-line block ×4, first 2 shown]
	v_fma_f64 v[18:19], v[6:7], 2.0, -v[14:15]
	v_fma_f64 v[6:7], v[10:11], 2.0, -v[16:17]
	;; [unrolled: 1-line block ×4, first 2 shown]
	v_add_f64 v[2:3], v[14:15], v[0:1]
	v_add_f64 v[0:1], v[12:13], -v[16:17]
	v_add_f64 v[6:7], v[18:19], -v[6:7]
	;; [unrolled: 1-line block ×3, first 2 shown]
	v_fma_f64 v[10:11], v[14:15], 2.0, -v[2:3]
	v_fma_f64 v[8:9], v[12:13], 2.0, -v[0:1]
	;; [unrolled: 1-line block ×4, first 2 shown]
	ds_write_b128 v133, v[8:11] offset:2288
	ds_write_b128 v133, v[4:7] offset:3744
	;; [unrolled: 1-line block ×4, first 2 shown]
.LBB0_19:
	s_or_b32 exec_lo, exec_lo, s1
	s_waitcnt lgkmcnt(0)
	s_barrier
	buffer_gl0_inv
	s_and_saveexec_b32 s0, vcc_lo
	s_cbranch_execz .LBB0_21
; %bb.20:
	v_mul_lo_u32 v4, s5, v58
	v_mul_lo_u32 v5, s4, v59
	v_mad_u64_u32 v[0:1], null, s4, v58, 0
	v_add_nc_u32_e32 v6, 52, v132
	v_mad_u64_u32 v[2:3], null, s2, v132, 0
	v_add_nc_u32_e32 v14, 0x68, v132
	v_lshl_add_u32 v17, v132, 4, 0
	v_mad_u64_u32 v[8:9], null, s2, v6, 0
	v_add3_u32 v1, v1, v5, v4
	v_mad_u64_u32 v[10:11], null, s2, v14, 0
	v_mad_u64_u32 v[3:4], null, s3, v132, v[3:4]
	v_lshlrev_b64 v[0:1], 4, v[0:1]
	v_mov_b32_e32 v4, v9
	v_add_nc_u32_e32 v18, 0x9c, v132
	v_add_co_u32 v7, vcc_lo, s10, v0
	v_add_co_ci_u32_e32 v9, vcc_lo, s11, v1, vcc_lo
	v_lshlrev_b64 v[0:1], 4, v[56:57]
	v_mad_u64_u32 v[4:5], null, s3, v6, v[4:5]
	v_lshlrev_b64 v[12:13], 4, v[2:3]
	v_add_co_u32 v30, vcc_lo, v7, v0
	v_add_co_ci_u32_e32 v31, vcc_lo, v9, v1, vcc_lo
	v_mov_b32_e32 v9, v4
	ds_read_b128 v[0:3], v17
	ds_read_b128 v[4:7], v17 offset:832
	v_add_co_u32 v12, vcc_lo, v30, v12
	v_add_co_ci_u32_e32 v13, vcc_lo, v31, v13, vcc_lo
	v_lshlrev_b64 v[8:9], 4, v[8:9]
	v_mad_u64_u32 v[14:15], null, s3, v14, v[11:12]
	v_mad_u64_u32 v[15:16], null, s2, v18, 0
	v_add_co_u32 v8, vcc_lo, v30, v8
	v_add_co_ci_u32_e32 v9, vcc_lo, v31, v9, vcc_lo
	v_mov_b32_e32 v11, v14
	s_waitcnt lgkmcnt(1)
	global_store_dwordx4 v[12:13], v[0:3], off
	s_waitcnt lgkmcnt(0)
	global_store_dwordx4 v[8:9], v[4:7], off
	v_lshlrev_b64 v[1:2], 4, v[10:11]
	v_mov_b32_e32 v0, v16
	v_add_nc_u32_e32 v5, 0xd0, v132
	v_add_nc_u32_e32 v14, 0x104, v132
	v_mad_u64_u32 v[3:4], null, s3, v18, v[0:1]
	v_mad_u64_u32 v[8:9], null, s2, v5, 0
	;; [unrolled: 1-line block ×3, first 2 shown]
	v_add_nc_u32_e32 v18, 0x138, v132
	v_add_co_u32 v22, vcc_lo, v30, v1
	v_mov_b32_e32 v16, v3
	v_mov_b32_e32 v0, v9
	v_mad_u64_u32 v[24:25], null, s2, v18, 0
	v_add_co_ci_u32_e32 v23, vcc_lo, v31, v2, vcc_lo
	v_mad_u64_u32 v[9:10], null, s3, v5, v[0:1]
	v_lshlrev_b64 v[11:12], 4, v[15:16]
	v_mov_b32_e32 v10, v21
	v_mov_b32_e32 v13, v25
	ds_read_b128 v[0:3], v17 offset:1664
	ds_read_b128 v[4:7], v17 offset:2496
	v_mad_u64_u32 v[14:15], null, s3, v14, v[10:11]
	v_lshlrev_b64 v[28:29], 4, v[8:9]
	v_mad_u64_u32 v[25:26], null, s3, v18, v[13:14]
	v_add_co_u32 v26, vcc_lo, v30, v11
	v_add_co_ci_u32_e32 v27, vcc_lo, v31, v12, vcc_lo
	v_mov_b32_e32 v21, v14
	ds_read_b128 v[8:11], v17 offset:3328
	ds_read_b128 v[12:15], v17 offset:4160
	;; [unrolled: 1-line block ×3, first 2 shown]
	v_add_co_u32 v28, vcc_lo, v30, v28
	v_lshlrev_b64 v[24:25], 4, v[24:25]
	v_lshlrev_b64 v[20:21], 4, v[20:21]
	v_add_co_ci_u32_e32 v29, vcc_lo, v31, v29, vcc_lo
	v_add_co_u32 v20, vcc_lo, v30, v20
	v_add_co_ci_u32_e32 v21, vcc_lo, v31, v21, vcc_lo
	v_add_co_u32 v24, vcc_lo, v30, v24
	v_add_co_ci_u32_e32 v25, vcc_lo, v31, v25, vcc_lo
	s_waitcnt lgkmcnt(4)
	global_store_dwordx4 v[22:23], v[0:3], off
	s_waitcnt lgkmcnt(3)
	global_store_dwordx4 v[26:27], v[4:7], off
	;; [unrolled: 2-line block ×5, first 2 shown]
.LBB0_21:
	s_endpgm
	.section	.rodata,"a",@progbits
	.p2align	6, 0x0
	.amdhsa_kernel fft_rtc_fwd_len364_factors_13_7_4_wgs_52_tpt_52_dp_op_CI_CI_sbrr_dirReg
		.amdhsa_group_segment_fixed_size 0
		.amdhsa_private_segment_fixed_size 0
		.amdhsa_kernarg_size 104
		.amdhsa_user_sgpr_count 6
		.amdhsa_user_sgpr_private_segment_buffer 1
		.amdhsa_user_sgpr_dispatch_ptr 0
		.amdhsa_user_sgpr_queue_ptr 0
		.amdhsa_user_sgpr_kernarg_segment_ptr 1
		.amdhsa_user_sgpr_dispatch_id 0
		.amdhsa_user_sgpr_flat_scratch_init 0
		.amdhsa_user_sgpr_private_segment_size 0
		.amdhsa_wavefront_size32 1
		.amdhsa_uses_dynamic_stack 0
		.amdhsa_system_sgpr_private_segment_wavefront_offset 0
		.amdhsa_system_sgpr_workgroup_id_x 1
		.amdhsa_system_sgpr_workgroup_id_y 0
		.amdhsa_system_sgpr_workgroup_id_z 0
		.amdhsa_system_sgpr_workgroup_info 0
		.amdhsa_system_vgpr_workitem_id 0
		.amdhsa_next_free_vgpr 148
		.amdhsa_next_free_sgpr 46
		.amdhsa_reserve_vcc 1
		.amdhsa_reserve_flat_scratch 0
		.amdhsa_float_round_mode_32 0
		.amdhsa_float_round_mode_16_64 0
		.amdhsa_float_denorm_mode_32 3
		.amdhsa_float_denorm_mode_16_64 3
		.amdhsa_dx10_clamp 1
		.amdhsa_ieee_mode 1
		.amdhsa_fp16_overflow 0
		.amdhsa_workgroup_processor_mode 1
		.amdhsa_memory_ordered 1
		.amdhsa_forward_progress 0
		.amdhsa_shared_vgpr_count 0
		.amdhsa_exception_fp_ieee_invalid_op 0
		.amdhsa_exception_fp_denorm_src 0
		.amdhsa_exception_fp_ieee_div_zero 0
		.amdhsa_exception_fp_ieee_overflow 0
		.amdhsa_exception_fp_ieee_underflow 0
		.amdhsa_exception_fp_ieee_inexact 0
		.amdhsa_exception_int_div_zero 0
	.end_amdhsa_kernel
	.text
.Lfunc_end0:
	.size	fft_rtc_fwd_len364_factors_13_7_4_wgs_52_tpt_52_dp_op_CI_CI_sbrr_dirReg, .Lfunc_end0-fft_rtc_fwd_len364_factors_13_7_4_wgs_52_tpt_52_dp_op_CI_CI_sbrr_dirReg
                                        ; -- End function
	.section	.AMDGPU.csdata,"",@progbits
; Kernel info:
; codeLenInByte = 8408
; NumSgprs: 48
; NumVgprs: 148
; ScratchSize: 0
; MemoryBound: 0
; FloatMode: 240
; IeeeMode: 1
; LDSByteSize: 0 bytes/workgroup (compile time only)
; SGPRBlocks: 5
; VGPRBlocks: 18
; NumSGPRsForWavesPerEU: 48
; NumVGPRsForWavesPerEU: 148
; Occupancy: 6
; WaveLimiterHint : 1
; COMPUTE_PGM_RSRC2:SCRATCH_EN: 0
; COMPUTE_PGM_RSRC2:USER_SGPR: 6
; COMPUTE_PGM_RSRC2:TRAP_HANDLER: 0
; COMPUTE_PGM_RSRC2:TGID_X_EN: 1
; COMPUTE_PGM_RSRC2:TGID_Y_EN: 0
; COMPUTE_PGM_RSRC2:TGID_Z_EN: 0
; COMPUTE_PGM_RSRC2:TIDIG_COMP_CNT: 0
	.text
	.p2alignl 6, 3214868480
	.fill 48, 4, 3214868480
	.type	__hip_cuid_aa389aaeb3aa95a6,@object ; @__hip_cuid_aa389aaeb3aa95a6
	.section	.bss,"aw",@nobits
	.globl	__hip_cuid_aa389aaeb3aa95a6
__hip_cuid_aa389aaeb3aa95a6:
	.byte	0                               ; 0x0
	.size	__hip_cuid_aa389aaeb3aa95a6, 1

	.ident	"AMD clang version 19.0.0git (https://github.com/RadeonOpenCompute/llvm-project roc-6.4.0 25133 c7fe45cf4b819c5991fe208aaa96edf142730f1d)"
	.section	".note.GNU-stack","",@progbits
	.addrsig
	.addrsig_sym __hip_cuid_aa389aaeb3aa95a6
	.amdgpu_metadata
---
amdhsa.kernels:
  - .args:
      - .actual_access:  read_only
        .address_space:  global
        .offset:         0
        .size:           8
        .value_kind:     global_buffer
      - .offset:         8
        .size:           8
        .value_kind:     by_value
      - .actual_access:  read_only
        .address_space:  global
        .offset:         16
        .size:           8
        .value_kind:     global_buffer
      - .actual_access:  read_only
        .address_space:  global
        .offset:         24
        .size:           8
        .value_kind:     global_buffer
      - .actual_access:  read_only
        .address_space:  global
        .offset:         32
        .size:           8
        .value_kind:     global_buffer
      - .offset:         40
        .size:           8
        .value_kind:     by_value
      - .actual_access:  read_only
        .address_space:  global
        .offset:         48
        .size:           8
        .value_kind:     global_buffer
      - .actual_access:  read_only
        .address_space:  global
        .offset:         56
        .size:           8
        .value_kind:     global_buffer
      - .offset:         64
        .size:           4
        .value_kind:     by_value
      - .actual_access:  read_only
        .address_space:  global
        .offset:         72
        .size:           8
        .value_kind:     global_buffer
      - .actual_access:  read_only
        .address_space:  global
        .offset:         80
        .size:           8
        .value_kind:     global_buffer
      - .actual_access:  read_only
        .address_space:  global
        .offset:         88
        .size:           8
        .value_kind:     global_buffer
      - .actual_access:  write_only
        .address_space:  global
        .offset:         96
        .size:           8
        .value_kind:     global_buffer
    .group_segment_fixed_size: 0
    .kernarg_segment_align: 8
    .kernarg_segment_size: 104
    .language:       OpenCL C
    .language_version:
      - 2
      - 0
    .max_flat_workgroup_size: 52
    .name:           fft_rtc_fwd_len364_factors_13_7_4_wgs_52_tpt_52_dp_op_CI_CI_sbrr_dirReg
    .private_segment_fixed_size: 0
    .sgpr_count:     48
    .sgpr_spill_count: 0
    .symbol:         fft_rtc_fwd_len364_factors_13_7_4_wgs_52_tpt_52_dp_op_CI_CI_sbrr_dirReg.kd
    .uniform_work_group_size: 1
    .uses_dynamic_stack: false
    .vgpr_count:     148
    .vgpr_spill_count: 0
    .wavefront_size: 32
    .workgroup_processor_mode: 1
amdhsa.target:   amdgcn-amd-amdhsa--gfx1030
amdhsa.version:
  - 1
  - 2
...

	.end_amdgpu_metadata
